;; amdgpu-corpus repo=ROCm/rocFFT kind=compiled arch=gfx950 opt=O3
	.text
	.amdgcn_target "amdgcn-amd-amdhsa--gfx950"
	.amdhsa_code_object_version 6
	.protected	fft_rtc_back_len112_factors_16_7_wgs_256_tpt_16_dp_ip_CI_unitstride_sbrr_R2C_dirReg ; -- Begin function fft_rtc_back_len112_factors_16_7_wgs_256_tpt_16_dp_ip_CI_unitstride_sbrr_R2C_dirReg
	.globl	fft_rtc_back_len112_factors_16_7_wgs_256_tpt_16_dp_ip_CI_unitstride_sbrr_R2C_dirReg
	.p2align	8
	.type	fft_rtc_back_len112_factors_16_7_wgs_256_tpt_16_dp_ip_CI_unitstride_sbrr_R2C_dirReg,@function
fft_rtc_back_len112_factors_16_7_wgs_256_tpt_16_dp_ip_CI_unitstride_sbrr_R2C_dirReg: ; @fft_rtc_back_len112_factors_16_7_wgs_256_tpt_16_dp_ip_CI_unitstride_sbrr_R2C_dirReg
; %bb.0:
	s_load_dwordx2 s[8:9], s[0:1], 0x50
	s_load_dwordx4 s[4:7], s[0:1], 0x0
	s_load_dwordx2 s[10:11], s[0:1], 0x18
	v_lshrrev_b32_e32 v1, 4, v0
	v_lshl_or_b32 v6, s2, 4, v1
	v_mov_b32_e32 v4, 0
	s_waitcnt lgkmcnt(0)
	v_cmp_lt_u64_e64 s[2:3], s[6:7], 2
	v_mov_b32_e32 v7, v4
	s_and_b64 vcc, exec, s[2:3]
	v_mov_b64_e32 v[2:3], 0
	s_cbranch_vccnz .LBB0_8
; %bb.1:
	s_load_dwordx2 s[2:3], s[0:1], 0x10
	s_add_u32 s12, s10, 8
	s_addc_u32 s13, s11, 0
	s_mov_b64 s[14:15], 1
	v_mov_b64_e32 v[2:3], 0
	s_waitcnt lgkmcnt(0)
	s_add_u32 s16, s2, 8
	s_addc_u32 s17, s3, 0
.LBB0_2:                                ; =>This Inner Loop Header: Depth=1
	s_load_dwordx2 s[18:19], s[16:17], 0x0
                                        ; implicit-def: $vgpr8_vgpr9
	s_waitcnt lgkmcnt(0)
	v_or_b32_e32 v5, s19, v7
	v_cmp_ne_u64_e32 vcc, 0, v[4:5]
	s_and_saveexec_b64 s[2:3], vcc
	s_xor_b64 s[20:21], exec, s[2:3]
	s_cbranch_execz .LBB0_4
; %bb.3:                                ;   in Loop: Header=BB0_2 Depth=1
	v_cvt_f32_u32_e32 v5, s18
	v_cvt_f32_u32_e32 v8, s19
	s_sub_u32 s2, 0, s18
	s_subb_u32 s3, 0, s19
	v_fmac_f32_e32 v5, 0x4f800000, v8
	v_rcp_f32_e32 v5, v5
	s_nop 0
	v_mul_f32_e32 v5, 0x5f7ffffc, v5
	v_mul_f32_e32 v8, 0x2f800000, v5
	v_trunc_f32_e32 v8, v8
	v_fmac_f32_e32 v5, 0xcf800000, v8
	v_cvt_u32_f32_e32 v12, v8
	v_cvt_u32_f32_e32 v5, v5
	v_mul_lo_u32 v8, s2, v12
	v_mul_hi_u32 v10, s2, v5
	v_mul_lo_u32 v9, s3, v5
	v_add_u32_e32 v10, v10, v8
	v_mul_lo_u32 v13, s2, v5
	v_add_u32_e32 v14, v10, v9
	v_mul_hi_u32 v8, v5, v13
	v_mul_hi_u32 v11, v5, v14
	v_mul_lo_u32 v10, v5, v14
	v_mov_b32_e32 v9, v4
	v_lshl_add_u64 v[8:9], v[8:9], 0, v[10:11]
	v_mul_hi_u32 v11, v12, v13
	v_mul_lo_u32 v13, v12, v13
	v_add_co_u32_e32 v8, vcc, v8, v13
	v_mul_hi_u32 v10, v12, v14
	s_nop 0
	v_addc_co_u32_e32 v8, vcc, v9, v11, vcc
	v_mov_b32_e32 v9, v4
	s_nop 0
	v_addc_co_u32_e32 v11, vcc, 0, v10, vcc
	v_mul_lo_u32 v10, v12, v14
	v_lshl_add_u64 v[8:9], v[8:9], 0, v[10:11]
	v_add_co_u32_e32 v5, vcc, v5, v8
	v_mul_lo_u32 v10, s2, v5
	s_nop 0
	v_addc_co_u32_e32 v12, vcc, v12, v9, vcc
	v_mul_lo_u32 v8, s2, v12
	v_mul_hi_u32 v9, s2, v5
	v_add_u32_e32 v8, v9, v8
	v_mul_lo_u32 v9, s3, v5
	v_add_u32_e32 v13, v8, v9
	v_mul_hi_u32 v15, v12, v10
	v_mul_lo_u32 v16, v12, v10
	v_mul_hi_u32 v9, v5, v13
	v_mul_lo_u32 v8, v5, v13
	v_mul_hi_u32 v10, v5, v10
	v_mov_b32_e32 v11, v4
	v_lshl_add_u64 v[8:9], v[10:11], 0, v[8:9]
	v_add_co_u32_e32 v8, vcc, v8, v16
	v_mul_hi_u32 v14, v12, v13
	s_nop 0
	v_addc_co_u32_e32 v8, vcc, v9, v15, vcc
	v_mul_lo_u32 v10, v12, v13
	s_nop 0
	v_addc_co_u32_e32 v11, vcc, 0, v14, vcc
	v_mov_b32_e32 v9, v4
	v_lshl_add_u64 v[8:9], v[8:9], 0, v[10:11]
	v_add_co_u32_e32 v5, vcc, v5, v8
	v_mul_hi_u32 v10, v6, v5
	s_nop 0
	v_addc_co_u32_e32 v12, vcc, v12, v9, vcc
	v_mad_u64_u32 v[8:9], s[2:3], v6, v12, 0
	v_mov_b32_e32 v11, v4
	v_lshl_add_u64 v[8:9], v[10:11], 0, v[8:9]
	v_mad_u64_u32 v[10:11], s[2:3], v7, v12, 0
	v_mad_u64_u32 v[12:13], s[2:3], v7, v5, 0
	v_add_co_u32_e32 v5, vcc, v8, v12
	s_nop 1
	v_addc_co_u32_e32 v8, vcc, v9, v13, vcc
	v_mov_b32_e32 v9, v4
	s_nop 0
	v_addc_co_u32_e32 v11, vcc, 0, v11, vcc
	v_lshl_add_u64 v[8:9], v[8:9], 0, v[10:11]
	v_mul_lo_u32 v5, s19, v8
	v_mul_lo_u32 v12, s18, v9
	v_mad_u64_u32 v[10:11], s[2:3], s18, v8, 0
	v_add3_u32 v5, v11, v12, v5
	v_sub_u32_e32 v11, v7, v5
	v_mov_b32_e32 v12, s19
	v_sub_co_u32_e32 v14, vcc, v6, v10
	s_nop 1
	v_subb_co_u32_e64 v10, s[2:3], v11, v12, vcc
	v_subrev_co_u32_e64 v11, s[2:3], s18, v14
	v_subb_co_u32_e32 v5, vcc, v7, v5, vcc
	s_nop 0
	v_subbrev_co_u32_e64 v10, s[2:3], 0, v10, s[2:3]
	v_cmp_le_u32_e64 s[2:3], s19, v10
	v_cmp_le_u32_e32 vcc, s19, v5
	s_nop 0
	v_cndmask_b32_e64 v12, 0, -1, s[2:3]
	v_cmp_le_u32_e64 s[2:3], s18, v11
	s_nop 1
	v_cndmask_b32_e64 v11, 0, -1, s[2:3]
	v_cmp_eq_u32_e64 s[2:3], s19, v10
	s_nop 1
	v_cndmask_b32_e64 v15, v12, v11, s[2:3]
	v_lshl_add_u64 v[10:11], v[8:9], 0, 2
	v_lshl_add_u64 v[12:13], v[8:9], 0, 1
	v_cmp_ne_u32_e64 s[2:3], 0, v15
	s_nop 1
	v_cndmask_b32_e64 v11, v13, v11, s[2:3]
	v_cndmask_b32_e64 v13, 0, -1, vcc
	v_cmp_le_u32_e32 vcc, s18, v14
	s_nop 1
	v_cndmask_b32_e64 v14, 0, -1, vcc
	v_cmp_eq_u32_e32 vcc, s19, v5
	s_nop 1
	v_cndmask_b32_e32 v5, v13, v14, vcc
	v_cmp_ne_u32_e32 vcc, 0, v5
	v_cndmask_b32_e64 v5, v12, v10, s[2:3]
	s_nop 0
	v_cndmask_b32_e32 v9, v9, v11, vcc
	v_cndmask_b32_e32 v8, v8, v5, vcc
.LBB0_4:                                ;   in Loop: Header=BB0_2 Depth=1
	s_andn2_saveexec_b64 s[2:3], s[20:21]
	s_cbranch_execz .LBB0_6
; %bb.5:                                ;   in Loop: Header=BB0_2 Depth=1
	v_cvt_f32_u32_e32 v5, s18
	s_sub_i32 s20, 0, s18
	v_rcp_iflag_f32_e32 v5, v5
	s_nop 0
	v_mul_f32_e32 v5, 0x4f7ffffe, v5
	v_cvt_u32_f32_e32 v5, v5
	v_mul_lo_u32 v8, s20, v5
	v_mul_hi_u32 v8, v5, v8
	v_add_u32_e32 v5, v5, v8
	v_mul_hi_u32 v5, v6, v5
	v_mul_lo_u32 v8, v5, s18
	v_sub_u32_e32 v8, v6, v8
	v_add_u32_e32 v9, 1, v5
	v_subrev_u32_e32 v10, s18, v8
	v_cmp_le_u32_e32 vcc, s18, v8
	s_nop 1
	v_cndmask_b32_e32 v8, v8, v10, vcc
	v_cndmask_b32_e32 v5, v5, v9, vcc
	v_add_u32_e32 v9, 1, v5
	v_cmp_le_u32_e32 vcc, s18, v8
	s_nop 1
	v_cndmask_b32_e32 v8, v5, v9, vcc
	v_mov_b32_e32 v9, v4
.LBB0_6:                                ;   in Loop: Header=BB0_2 Depth=1
	s_or_b64 exec, exec, s[2:3]
	v_mad_u64_u32 v[10:11], s[2:3], v8, s18, 0
	s_load_dwordx2 s[2:3], s[12:13], 0x0
	v_mul_lo_u32 v5, v9, s18
	v_mul_lo_u32 v12, v8, s19
	v_add3_u32 v5, v11, v12, v5
	v_sub_co_u32_e32 v6, vcc, v6, v10
	s_add_u32 s14, s14, 1
	s_nop 0
	v_subb_co_u32_e32 v5, vcc, v7, v5, vcc
	s_addc_u32 s15, s15, 0
	s_waitcnt lgkmcnt(0)
	v_mul_lo_u32 v5, s2, v5
	v_mul_lo_u32 v7, s3, v6
	v_mad_u64_u32 v[2:3], s[2:3], s2, v6, v[2:3]
	s_add_u32 s12, s12, 8
	v_add3_u32 v3, v7, v3, v5
	s_addc_u32 s13, s13, 0
	v_mov_b64_e32 v[6:7], s[6:7]
	s_add_u32 s16, s16, 8
	v_cmp_ge_u64_e32 vcc, s[14:15], v[6:7]
	s_addc_u32 s17, s17, 0
	s_cbranch_vccnz .LBB0_9
; %bb.7:                                ;   in Loop: Header=BB0_2 Depth=1
	v_mov_b64_e32 v[6:7], v[8:9]
	s_branch .LBB0_2
.LBB0_8:
	v_mov_b64_e32 v[8:9], v[6:7]
.LBB0_9:
	s_lshl_b64 s[2:3], s[6:7], 3
	s_add_u32 s2, s10, s2
	s_addc_u32 s3, s11, s3
	s_load_dwordx2 s[6:7], s[2:3], 0x0
	s_load_dwordx2 s[10:11], s[0:1], 0x20
	v_mul_u32_u24_e32 v1, 0x71, v1
	v_and_b32_e32 v66, 15, v0
	v_lshlrev_b32_e32 v68, 4, v66
	s_waitcnt lgkmcnt(0)
	v_mul_lo_u32 v4, s6, v9
	v_mul_lo_u32 v5, s7, v8
	v_mad_u64_u32 v[2:3], s[0:1], s6, v8, v[2:3]
	v_add3_u32 v3, v5, v3, v4
	v_cmp_gt_u64_e32 vcc, s[10:11], v[8:9]
	v_lshl_add_u64 v[64:65], v[2:3], 4, s[8:9]
	v_lshlrev_b32_e32 v73, 4, v1
	s_and_saveexec_b64 s[0:1], vcc
	s_cbranch_execz .LBB0_11
; %bb.10:
	v_mov_b32_e32 v69, 0
	v_lshl_add_u64 v[28:29], v[64:65], 0, v[68:69]
	global_load_dwordx4 v[0:3], v[28:29], off
	global_load_dwordx4 v[4:7], v[28:29], off offset:256
	global_load_dwordx4 v[8:11], v[28:29], off offset:512
	;; [unrolled: 1-line block ×6, first 2 shown]
	v_add3_u32 v28, 0, v73, v68
	s_waitcnt vmcnt(6)
	ds_write_b128 v28, v[0:3]
	s_waitcnt vmcnt(5)
	ds_write_b128 v28, v[4:7] offset:256
	s_waitcnt vmcnt(4)
	ds_write_b128 v28, v[8:11] offset:512
	;; [unrolled: 2-line block ×6, first 2 shown]
.LBB0_11:
	s_or_b64 exec, exec, s[0:1]
	v_add_u32_e32 v67, 0, v73
	v_add_u32_e32 v69, v67, v68
	s_waitcnt lgkmcnt(0)
	s_barrier
	v_add3_u32 v72, 0, v68, v73
	ds_read_b128 v[8:11], v69
	ds_read_b128 v[24:27], v72 offset:112
	ds_read_b128 v[0:3], v72 offset:224
	ds_read_b128 v[16:19], v72 offset:336
	ds_read_b128 v[12:15], v72 offset:448
	ds_read_b128 v[28:31], v72 offset:560
	ds_read_b128 v[4:7], v72 offset:672
	ds_read_b128 v[20:23], v72 offset:784
	ds_read_b128 v[32:35], v72 offset:896
	ds_read_b128 v[40:43], v72 offset:1008
	ds_read_b128 v[56:59], v72 offset:1120
	ds_read_b128 v[48:51], v72 offset:1232
	ds_read_b128 v[36:39], v72 offset:1344
	ds_read_b128 v[44:47], v72 offset:1456
	ds_read_b128 v[60:63], v72 offset:1568
	ds_read_b128 v[52:55], v72 offset:1680
	v_cmp_gt_u32_e64 s[0:1], 7, v66
	s_waitcnt lgkmcnt(0)
	s_barrier
	s_and_saveexec_b64 s[2:3], s[0:1]
	s_cbranch_execz .LBB0_13
; %bb.12:
	v_add_f64 v[58:59], v[2:3], -v[58:59]
	v_add_f64 v[56:57], v[0:1], -v[56:57]
	v_add_f64 v[60:61], v[4:5], -v[60:61]
	v_add_f64 v[62:63], v[6:7], -v[62:63]
	v_add_f64 v[50:51], v[18:19], -v[50:51]
	v_add_f64 v[48:49], v[16:17], -v[48:49]
	v_add_f64 v[52:53], v[20:21], -v[52:53]
	v_add_f64 v[54:55], v[22:23], -v[54:55]
	v_add_f64 v[42:43], v[26:27], -v[42:43]
	v_add_f64 v[40:41], v[24:25], -v[40:41]
	v_add_f64 v[70:71], v[28:29], -v[44:45]
	v_add_f64 v[44:45], v[30:31], -v[46:47]
	v_add_f64 v[34:35], v[10:11], -v[34:35]
	v_add_f64 v[32:33], v[8:9], -v[32:33]
	v_add_f64 v[46:47], v[12:13], -v[36:37]
	v_add_f64 v[36:37], v[14:15], -v[38:39]
	v_fma_f64 v[26:27], v[26:27], 2.0, -v[42:43]
	v_fma_f64 v[24:25], v[24:25], 2.0, -v[40:41]
	;; [unrolled: 1-line block ×16, first 2 shown]
	v_add_f64 v[38:39], v[10:11], -v[14:15]
	v_add_f64 v[74:75], v[0:1], -v[4:5]
	;; [unrolled: 1-line block ×8, first 2 shown]
	v_fma_f64 v[0:1], v[0:1], 2.0, -v[74:75]
	v_fma_f64 v[4:5], v[16:17], 2.0, -v[76:77]
	v_fma_f64 v[14:15], v[18:19], 2.0, -v[78:79]
	v_fma_f64 v[2:3], v[2:3], 2.0, -v[82:83]
	v_fma_f64 v[6:7], v[26:27], 2.0, -v[30:31]
	v_fma_f64 v[12:13], v[24:25], 2.0, -v[28:29]
	v_fma_f64 v[10:11], v[10:11], 2.0, -v[38:39]
	v_fma_f64 v[8:9], v[8:9], 2.0, -v[80:81]
	v_add_f64 v[84:85], v[10:11], -v[2:3]
	v_add_f64 v[86:87], v[12:13], -v[4:5]
	;; [unrolled: 1-line block ×4, first 2 shown]
	v_fma_f64 v[0:1], v[6:7], 2.0, -v[90:91]
	v_fma_f64 v[4:5], v[10:11], 2.0, -v[84:85]
	;; [unrolled: 1-line block ×4, first 2 shown]
	v_add_f64 v[2:3], v[4:5], -v[0:1]
	v_add_f64 v[0:1], v[8:9], -v[6:7]
	v_fma_f64 v[6:7], v[4:5], 2.0, -v[2:3]
	v_fma_f64 v[4:5], v[8:9], 2.0, -v[0:1]
	v_lshlrev_b32_e32 v8, 8, v66
	v_add3_u32 v73, 0, v8, v73
	s_mov_b32 s0, 0x667f3bcd
	v_add_f64 v[16:17], v[48:49], v[54:55]
	v_add_f64 v[18:19], v[40:41], v[44:45]
	ds_write_b128 v73, v[4:7]
	s_mov_b32 s1, 0x3fe6a09e
	s_mov_b32 s7, 0xbfe6a09e
	;; [unrolled: 1-line block ×3, first 2 shown]
	v_add_f64 v[12:13], v[42:43], -v[70:71]
	v_add_f64 v[14:15], v[50:51], -v[52:53]
	v_fma_f64 v[6:7], v[48:49], 2.0, -v[16:17]
	v_fma_f64 v[10:11], v[40:41], 2.0, -v[18:19]
	;; [unrolled: 1-line block ×4, first 2 shown]
	v_fma_f64 v[48:49], s[6:7], v[6:7], v[10:11]
	v_add_f64 v[20:21], v[34:35], -v[46:47]
	v_add_f64 v[22:23], v[58:59], -v[60:61]
	v_fma_f64 v[44:45], s[6:7], v[4:5], v[8:9]
	v_fmac_f64_e32 v[48:49], s[0:1], v[4:5]
	v_add_f64 v[24:25], v[56:57], v[62:63]
	v_add_f64 v[26:27], v[32:33], v[36:37]
	v_fma_f64 v[4:5], v[58:59], 2.0, -v[22:23]
	v_fma_f64 v[34:35], v[34:35], 2.0, -v[20:21]
	v_fmac_f64_e32 v[44:45], s[6:7], v[6:7]
	v_fma_f64 v[6:7], v[56:57], 2.0, -v[24:25]
	v_fma_f64 v[46:47], s[6:7], v[4:5], v[34:35]
	v_fma_f64 v[32:33], v[32:33], 2.0, -v[26:27]
	v_fmac_f64_e32 v[46:47], s[6:7], v[6:7]
	v_fma_f64 v[50:51], s[6:7], v[6:7], v[32:33]
	s_mov_b32 s8, 0xcf328d46
	v_fmac_f64_e32 v[50:51], s[0:1], v[4:5]
	s_mov_b32 s9, 0x3fed906b
	s_mov_b32 s10, 0xa6aea964
	;; [unrolled: 1-line block ×4, first 2 shown]
	v_fma_f64 v[8:9], v[8:9], 2.0, -v[44:45]
	v_fma_f64 v[4:5], v[10:11], 2.0, -v[48:49]
	;; [unrolled: 1-line block ×3, first 2 shown]
	s_mov_b32 s11, 0xbfd87de2
	v_fma_f64 v[32:33], v[32:33], 2.0, -v[50:51]
	v_fma_f64 v[6:7], s[12:13], v[8:9], v[10:11]
	v_fmac_f64_e32 v[6:7], s[10:11], v[4:5]
	v_fma_f64 v[4:5], s[12:13], v[4:5], v[32:33]
	s_mov_b32 s15, 0x3fd87de2
	s_mov_b32 s14, s10
	v_fmac_f64_e32 v[4:5], s[14:15], v[8:9]
	v_fma_f64 v[8:9], v[32:33], 2.0, -v[4:5]
	v_fma_f64 v[32:33], s[0:1], v[24:25], v[26:27]
	v_fmac_f64_e32 v[32:33], s[0:1], v[22:23]
	v_fma_f64 v[22:23], s[0:1], v[22:23], v[20:21]
	v_fmac_f64_e32 v[22:23], s[6:7], v[24:25]
	;; [unrolled: 2-line block ×3, first 2 shown]
	v_fma_f64 v[14:15], s[0:1], v[14:15], v[12:13]
	v_fma_f64 v[10:11], v[10:11], 2.0, -v[6:7]
	v_fmac_f64_e32 v[14:15], s[6:7], v[16:17]
	ds_write_b128 v73, v[8:11] offset:16
	v_fma_f64 v[10:11], s[8:9], v[14:15], v[22:23]
	v_fma_f64 v[34:35], v[12:13], 2.0, -v[14:15]
	v_fma_f64 v[20:21], v[20:21], 2.0, -v[22:23]
	v_fma_f64 v[8:9], s[8:9], v[24:25], v[32:33]
	v_fmac_f64_e32 v[10:11], s[10:11], v[24:25]
	v_fma_f64 v[16:17], v[18:19], 2.0, -v[24:25]
	v_fma_f64 v[24:25], v[26:27], 2.0, -v[32:33]
	v_fma_f64 v[18:19], s[10:11], v[34:35], v[20:21]
	v_fmac_f64_e32 v[18:19], s[12:13], v[16:17]
	v_fma_f64 v[16:17], s[10:11], v[16:17], v[24:25]
	v_fmac_f64_e32 v[8:9], s[14:15], v[14:15]
	v_fmac_f64_e32 v[16:17], s[8:9], v[34:35]
	v_add_f64 v[36:37], v[28:29], v[78:79]
	v_add_f64 v[40:41], v[80:81], v[82:83]
	v_fma_f64 v[14:15], v[22:23], 2.0, -v[10:11]
	v_fma_f64 v[12:13], v[32:33], 2.0, -v[8:9]
	;; [unrolled: 1-line block ×4, first 2 shown]
	v_add_f64 v[32:33], v[38:39], -v[74:75]
	v_add_f64 v[34:35], v[30:31], -v[76:77]
	v_fma_f64 v[24:25], s[0:1], v[36:37], v[40:41]
	v_fma_f64 v[26:27], s[0:1], v[34:35], v[32:33]
	v_fmac_f64_e32 v[24:25], s[0:1], v[34:35]
	v_fmac_f64_e32 v[26:27], s[6:7], v[36:37]
	v_fma_f64 v[36:37], v[28:29], 2.0, -v[36:37]
	v_fma_f64 v[28:29], v[40:41], 2.0, -v[24:25]
	;; [unrolled: 1-line block ×6, first 2 shown]
	v_fma_f64 v[32:33], s[6:7], v[36:37], v[40:41]
	v_fma_f64 v[34:35], s[6:7], v[42:43], v[38:39]
	v_fmac_f64_e32 v[32:33], s[0:1], v[42:43]
	v_fmac_f64_e32 v[34:35], s[6:7], v[36:37]
	v_fma_f64 v[36:37], v[40:41], 2.0, -v[32:33]
	v_fma_f64 v[40:41], s[14:15], v[48:49], v[50:51]
	v_fma_f64 v[42:43], s[14:15], v[44:45], v[46:47]
	v_fmac_f64_e32 v[40:41], s[8:9], v[44:45]
	v_fma_f64 v[38:39], v[38:39], 2.0, -v[34:35]
	v_fmac_f64_e32 v[42:43], s[12:13], v[48:49]
	v_fma_f64 v[44:45], v[50:51], 2.0, -v[40:41]
	v_add_f64 v[48:49], v[88:89], v[90:91]
	v_add_f64 v[50:51], v[84:85], -v[86:87]
	v_fma_f64 v[46:47], v[46:47], 2.0, -v[42:43]
	v_fma_f64 v[54:55], v[84:85], 2.0, -v[50:51]
	;; [unrolled: 1-line block ×3, first 2 shown]
	ds_write_b128 v73, v[36:39] offset:32
	ds_write_b128 v73, v[20:23] offset:48
	;; [unrolled: 1-line block ×14, first 2 shown]
.LBB0_13:
	s_or_b64 exec, exec, s[2:3]
	v_mul_u32_u24_e32 v0, 6, v66
	v_lshlrev_b32_e32 v24, 4, v0
	s_waitcnt lgkmcnt(0)
	s_barrier
	global_load_dwordx4 v[0:3], v24, s[4:5]
	global_load_dwordx4 v[4:7], v24, s[4:5] offset:16
	global_load_dwordx4 v[8:11], v24, s[4:5] offset:32
	;; [unrolled: 1-line block ×5, first 2 shown]
	ds_read_b128 v[24:27], v69
	ds_read_b128 v[28:31], v72 offset:256
	ds_read_b128 v[32:35], v72 offset:512
	;; [unrolled: 1-line block ×6, first 2 shown]
	s_mov_b32 s6, 0xe976ee23
	s_mov_b32 s7, 0x3fe11646
	;; [unrolled: 1-line block ×6, first 2 shown]
	s_waitcnt lgkmcnt(0)
	s_barrier
	s_waitcnt vmcnt(5)
	v_mul_f64 v[52:53], v[30:31], v[2:3]
	v_mul_f64 v[2:3], v[28:29], v[2:3]
	s_waitcnt vmcnt(4)
	v_mul_f64 v[54:55], v[34:35], v[6:7]
	v_mul_f64 v[6:7], v[32:33], v[6:7]
	;; [unrolled: 3-line block ×4, first 2 shown]
	v_fmac_f64_e32 v[52:53], v[28:29], v[0:1]
	v_fma_f64 v[0:1], v[30:31], v[0:1], -v[2:3]
	s_waitcnt vmcnt(1)
	v_mul_f64 v[2:3], v[46:47], v[18:19]
	s_waitcnt vmcnt(0)
	v_mul_f64 v[28:29], v[50:51], v[22:23]
	v_mul_f64 v[22:23], v[48:49], v[22:23]
	;; [unrolled: 1-line block ×3, first 2 shown]
	v_fmac_f64_e32 v[54:55], v[32:33], v[4:5]
	v_fma_f64 v[4:5], v[34:35], v[4:5], -v[6:7]
	v_fmac_f64_e32 v[56:57], v[36:37], v[8:9]
	v_fma_f64 v[6:7], v[38:39], v[8:9], -v[10:11]
	;; [unrolled: 2-line block ×3, first 2 shown]
	v_fmac_f64_e32 v[2:3], v[44:45], v[16:17]
	v_fmac_f64_e32 v[28:29], v[48:49], v[20:21]
	v_fma_f64 v[12:13], v[50:51], v[20:21], -v[22:23]
	v_fma_f64 v[10:11], v[46:47], v[16:17], -v[18:19]
	v_add_f64 v[14:15], v[52:53], v[28:29]
	v_add_f64 v[16:17], v[0:1], v[12:13]
	v_add_f64 v[0:1], v[0:1], -v[12:13]
	v_add_f64 v[12:13], v[54:55], v[2:3]
	v_add_f64 v[18:19], v[52:53], -v[28:29]
	v_add_f64 v[20:21], v[4:5], v[10:11]
	v_add_f64 v[2:3], v[54:55], -v[2:3]
	v_add_f64 v[4:5], v[4:5], -v[10:11]
	v_add_f64 v[10:11], v[56:57], v[58:59]
	v_add_f64 v[22:23], v[6:7], v[8:9]
	v_add_f64 v[28:29], v[58:59], -v[56:57]
	v_add_f64 v[6:7], v[8:9], -v[6:7]
	v_add_f64 v[8:9], v[12:13], v[14:15]
	v_add_f64 v[30:31], v[20:21], v[16:17]
	;; [unrolled: 1-line block ×3, first 2 shown]
	v_add_f64 v[40:41], v[28:29], -v[2:3]
	v_add_f64 v[42:43], v[6:7], -v[4:5]
	v_add_f64 v[8:9], v[10:11], v[8:9]
	v_add_f64 v[32:33], v[12:13], -v[14:15]
	v_add_f64 v[34:35], v[20:21], -v[16:17]
	;; [unrolled: 1-line block ×8, first 2 shown]
	v_add_f64 v[10:11], v[22:23], v[30:31]
	v_add_f64 v[22:23], v[38:39], v[0:1]
	v_mul_f64 v[38:39], v[40:41], s[6:7]
	v_mul_f64 v[40:41], v[42:43], s[6:7]
	v_add_f64 v[0:1], v[24:25], v[8:9]
	s_mov_b32 s6, 0xaaaaaaaa
	v_add_f64 v[36:37], v[28:29], v[2:3]
	v_add_f64 v[44:45], v[2:3], -v[18:19]
	v_add_f64 v[2:3], v[26:27], v[10:11]
	s_mov_b32 s7, 0xbff2aaaa
	v_mov_b64_e32 v[42:43], v[0:1]
	v_fmac_f64_e32 v[42:43], s[6:7], v[8:9]
	v_mov_b64_e32 v[8:9], v[2:3]
	v_add_f64 v[28:29], v[18:19], -v[28:29]
	v_add_f64 v[18:19], v[36:37], v[18:19]
	v_mul_f64 v[14:15], v[14:15], s[2:3]
	v_mul_f64 v[30:31], v[12:13], s[0:1]
	;; [unrolled: 1-line block ×3, first 2 shown]
	v_fmac_f64_e32 v[8:9], s[6:7], v[10:11]
	s_mov_b32 s7, 0x3fe77f67
	s_mov_b32 s6, 0x5476071b
	v_mul_f64 v[16:17], v[16:17], s[2:3]
	s_mov_b32 s2, 0x429ad128
	v_fma_f64 v[10:11], s[0:1], v[12:13], v[14:15]
	v_fma_f64 v[12:13], v[32:33], s[6:7], -v[30:31]
	v_fma_f64 v[30:31], v[34:35], s[6:7], -v[36:37]
	s_mov_b32 s7, 0xbfe77f67
	s_mov_b32 s3, 0xbfebfeb5
	v_fma_f64 v[14:15], v[32:33], s[6:7], -v[14:15]
	v_fma_f64 v[32:33], v[34:35], s[6:7], -v[16:17]
	v_fmac_f64_e32 v[16:17], s[0:1], v[20:21]
	s_mov_b32 s1, 0xbfd5d0dc
	s_mov_b32 s0, 0xb247c609
	v_mul_f64 v[24:25], v[44:45], s[2:3]
	v_mul_f64 v[26:27], v[4:5], s[2:3]
	v_fma_f64 v[34:35], s[0:1], v[28:29], v[38:39]
	v_fma_f64 v[36:37], v[4:5], s[2:3], -v[40:41]
	v_fmac_f64_e32 v[40:41], s[0:1], v[6:7]
	s_mov_b32 s1, 0x3fd5d0dc
	v_fma_f64 v[24:25], v[28:29], s[0:1], -v[24:25]
	v_fma_f64 v[26:27], v[6:7], s[0:1], -v[26:27]
	s_mov_b32 s0, 0x37c3f68c
	s_mov_b32 s1, 0xbfdc38aa
	v_fma_f64 v[20:21], v[44:45], s[2:3], -v[38:39]
	v_add_f64 v[28:29], v[10:11], v[42:43]
	v_add_f64 v[38:39], v[16:17], v[8:9]
	v_fmac_f64_e32 v[34:35], s[0:1], v[18:19]
	v_fmac_f64_e32 v[40:41], s[0:1], v[22:23]
	v_add_f64 v[16:17], v[12:13], v[42:43]
	v_add_f64 v[30:31], v[30:31], v[8:9]
	;; [unrolled: 1-line block ×4, first 2 shown]
	v_fmac_f64_e32 v[20:21], s[0:1], v[18:19]
	v_fmac_f64_e32 v[36:37], s[0:1], v[22:23]
	;; [unrolled: 1-line block ×4, first 2 shown]
	v_add_f64 v[4:5], v[40:41], v[28:29]
	v_add_f64 v[6:7], v[38:39], -v[34:35]
	v_add_f64 v[8:9], v[26:27], v[42:43]
	v_add_f64 v[10:11], v[32:33], -v[24:25]
	v_add_f64 v[12:13], v[16:17], -v[36:37]
	v_add_f64 v[14:15], v[20:21], v[30:31]
	v_add_f64 v[16:17], v[36:37], v[16:17]
	v_add_f64 v[18:19], v[30:31], -v[20:21]
	v_add_f64 v[20:21], v[42:43], -v[26:27]
	v_add_f64 v[22:23], v[24:25], v[32:33]
	v_add_f64 v[24:25], v[28:29], -v[40:41]
	v_add_f64 v[26:27], v[34:35], v[38:39]
	ds_write_b128 v72, v[0:3]
	ds_write_b128 v72, v[4:7] offset:256
	ds_write_b128 v72, v[8:11] offset:512
	;; [unrolled: 1-line block ×6, first 2 shown]
	s_waitcnt lgkmcnt(0)
	s_barrier
	ds_read_b128 v[4:7], v69
	v_sub_u32_e32 v12, v67, v68
	v_cmp_ne_u32_e64 s[0:1], 0, v66
                                        ; implicit-def: $vgpr2_vgpr3
                                        ; implicit-def: $vgpr10_vgpr11
                                        ; implicit-def: $vgpr8_vgpr9
	s_and_saveexec_b64 s[2:3], s[0:1]
	s_xor_b64 s[0:1], exec, s[2:3]
	s_cbranch_execz .LBB0_15
; %bb.14:
	global_load_dwordx4 v[0:3], v68, s[4:5] offset:1536
	ds_read_b128 v[8:11], v12 offset:1792
	v_mov_b32_e32 v67, 0
	s_waitcnt lgkmcnt(0)
	v_add_f64 v[14:15], v[4:5], v[8:9]
	v_add_f64 v[4:5], v[4:5], -v[8:9]
	v_add_f64 v[16:17], v[6:7], v[10:11]
	v_add_f64 v[6:7], v[6:7], -v[10:11]
	v_mul_f64 v[4:5], v[4:5], 0.5
	v_mul_f64 v[8:9], v[16:17], 0.5
	v_mul_f64 v[6:7], v[6:7], 0.5
	s_waitcnt vmcnt(0)
	v_mul_f64 v[16:17], v[4:5], v[2:3]
	v_fma_f64 v[10:11], v[8:9], v[2:3], v[6:7]
	v_fma_f64 v[2:3], v[8:9], v[2:3], -v[6:7]
	v_fma_f64 v[6:7], 0.5, v[14:15], v[16:17]
	v_fma_f64 v[14:15], v[14:15], 0.5, -v[16:17]
	v_fmac_f64_e32 v[6:7], v[8:9], v[0:1]
	v_fma_f64 v[10:11], -v[0:1], v[4:5], v[10:11]
	v_fma_f64 v[2:3], -v[0:1], v[4:5], v[2:3]
	;; [unrolled: 1-line block ×3, first 2 shown]
	ds_write_b64 v69, v[6:7]
	v_mov_b64_e32 v[8:9], v[66:67]
                                        ; implicit-def: $vgpr4_vgpr5
                                        ; implicit-def: $vgpr67
.LBB0_15:
	s_andn2_saveexec_b64 s[0:1], s[0:1]
	s_cbranch_execz .LBB0_17
; %bb.16:
	ds_read_b64 v[2:3], v67 offset:904
	s_waitcnt lgkmcnt(1)
	v_add_f64 v[10:11], v[4:5], v[6:7]
	ds_write_b64 v69, v[10:11]
	v_mov_b64_e32 v[10:11], 0
	v_add_f64 v[0:1], v[4:5], -v[6:7]
	s_waitcnt lgkmcnt(1)
	v_xor_b32_e32 v3, 0x80000000, v3
	v_mov_b64_e32 v[8:9], 0
	ds_write_b64 v67, v[2:3] offset:904
	v_mov_b64_e32 v[2:3], v[10:11]
.LBB0_17:
	s_or_b64 exec, exec, s[0:1]
	s_add_u32 s0, s4, 0x600
	s_addc_u32 s1, s5, 0
	s_waitcnt lgkmcnt(0)
	v_lshl_add_u64 v[4:5], v[8:9], 4, s[0:1]
	global_load_dwordx4 v[14:17], v[4:5], off offset:256
	global_load_dwordx4 v[18:21], v[4:5], off offset:512
	ds_write_b64 v69, v[10:11] offset:8
	ds_write_b128 v12, v[0:3] offset:1792
	ds_read_b128 v[0:3], v69 offset:256
	ds_read_b128 v[22:25], v12 offset:1536
	v_or_b32_e32 v13, 48, v66
	v_cmp_gt_u32_e64 s[0:1], 56, v13
	s_waitcnt lgkmcnt(0)
	v_add_f64 v[6:7], v[0:1], v[22:23]
	v_add_f64 v[0:1], v[0:1], -v[22:23]
	v_add_f64 v[10:11], v[2:3], v[24:25]
	v_add_f64 v[2:3], v[2:3], -v[24:25]
	v_mul_f64 v[22:23], v[0:1], 0.5
	v_mul_f64 v[10:11], v[10:11], 0.5
	;; [unrolled: 1-line block ×3, first 2 shown]
	s_waitcnt vmcnt(1)
	v_mul_f64 v[24:25], v[22:23], v[16:17]
	v_fma_f64 v[2:3], v[10:11], v[16:17], v[0:1]
	v_fma_f64 v[16:17], v[10:11], v[16:17], -v[0:1]
	v_fma_f64 v[0:1], 0.5, v[6:7], v[24:25]
	v_fma_f64 v[2:3], -v[14:15], v[22:23], v[2:3]
	v_fma_f64 v[6:7], v[6:7], 0.5, -v[24:25]
	v_fmac_f64_e32 v[0:1], v[10:11], v[14:15]
	v_fma_f64 v[16:17], -v[14:15], v[22:23], v[16:17]
	v_fma_f64 v[14:15], -v[10:11], v[14:15], v[6:7]
	ds_write_b128 v69, v[0:3] offset:256
	ds_write_b128 v12, v[14:17] offset:1536
	ds_read_b128 v[0:3], v69 offset:512
	ds_read_b128 v[14:17], v12 offset:1280
	s_waitcnt lgkmcnt(0)
	v_add_f64 v[6:7], v[0:1], v[14:15]
	v_add_f64 v[0:1], v[0:1], -v[14:15]
	v_add_f64 v[10:11], v[2:3], v[16:17]
	v_add_f64 v[2:3], v[2:3], -v[16:17]
	v_mul_f64 v[14:15], v[0:1], 0.5
	v_mul_f64 v[10:11], v[10:11], 0.5
	;; [unrolled: 1-line block ×3, first 2 shown]
	s_waitcnt vmcnt(0)
	v_mul_f64 v[16:17], v[14:15], v[20:21]
	v_fma_f64 v[2:3], v[10:11], v[20:21], v[0:1]
	v_fma_f64 v[20:21], v[10:11], v[20:21], -v[0:1]
	v_fma_f64 v[0:1], 0.5, v[6:7], v[16:17]
	v_fma_f64 v[2:3], -v[18:19], v[14:15], v[2:3]
	v_fma_f64 v[6:7], v[6:7], 0.5, -v[16:17]
	v_fmac_f64_e32 v[0:1], v[10:11], v[18:19]
	v_fma_f64 v[16:17], -v[18:19], v[14:15], v[20:21]
	v_fma_f64 v[14:15], -v[10:11], v[18:19], v[6:7]
	ds_write_b128 v69, v[0:3] offset:512
	ds_write_b128 v12, v[14:17] offset:1280
	s_and_saveexec_b64 s[2:3], s[0:1]
	s_cbranch_execz .LBB0_19
; %bb.18:
	global_load_dwordx4 v[0:3], v[4:5], off offset:768
	ds_read_b128 v[4:7], v69 offset:768
	ds_read_b128 v[14:17], v12 offset:1024
	s_waitcnt lgkmcnt(0)
	v_add_f64 v[10:11], v[4:5], v[14:15]
	v_add_f64 v[4:5], v[4:5], -v[14:15]
	v_add_f64 v[18:19], v[6:7], v[16:17]
	v_add_f64 v[6:7], v[6:7], -v[16:17]
	v_mul_f64 v[16:17], v[4:5], 0.5
	v_mul_f64 v[14:15], v[18:19], 0.5
	;; [unrolled: 1-line block ×3, first 2 shown]
	s_waitcnt vmcnt(0)
	v_mul_f64 v[6:7], v[16:17], v[2:3]
	v_fma_f64 v[18:19], v[14:15], v[2:3], v[4:5]
	v_fma_f64 v[20:21], v[14:15], v[2:3], -v[4:5]
	v_fma_f64 v[2:3], 0.5, v[10:11], v[6:7]
	v_fma_f64 v[4:5], -v[0:1], v[16:17], v[18:19]
	v_fma_f64 v[6:7], v[10:11], 0.5, -v[6:7]
	v_fmac_f64_e32 v[2:3], v[14:15], v[0:1]
	v_fma_f64 v[16:17], -v[0:1], v[16:17], v[20:21]
	v_fma_f64 v[14:15], -v[14:15], v[0:1], v[6:7]
	ds_write_b128 v69, v[2:5] offset:768
	ds_write_b128 v12, v[14:17] offset:1024
.LBB0_19:
	s_or_b64 exec, exec, s[2:3]
	s_waitcnt lgkmcnt(0)
	s_barrier
	s_and_saveexec_b64 s[0:1], vcc
	s_cbranch_execz .LBB0_22
; %bb.20:
	ds_read_b128 v[0:3], v69
	ds_read_b128 v[4:7], v69 offset:256
	v_lshl_add_u64 v[20:21], v[8:9], 4, v[64:65]
	v_cmp_eq_u32_e32 vcc, 15, v66
	s_waitcnt lgkmcnt(1)
	global_store_dwordx4 v[20:21], v[0:3], off
	s_waitcnt lgkmcnt(0)
	global_store_dwordx4 v[20:21], v[4:7], off offset:256
	ds_read_b128 v[0:3], v69 offset:512
	ds_read_b128 v[4:7], v69 offset:768
	;; [unrolled: 1-line block ×5, first 2 shown]
	s_waitcnt lgkmcnt(4)
	global_store_dwordx4 v[20:21], v[0:3], off offset:512
	s_waitcnt lgkmcnt(3)
	global_store_dwordx4 v[20:21], v[4:7], off offset:768
	;; [unrolled: 2-line block ×5, first 2 shown]
	s_and_b64 exec, exec, vcc
	s_cbranch_execz .LBB0_22
; %bb.21:
	ds_read_b128 v[0:3], v69 offset:1552
	s_waitcnt lgkmcnt(0)
	global_store_dwordx4 v[64:65], v[0:3], off offset:1792
.LBB0_22:
	s_endpgm
	.section	.rodata,"a",@progbits
	.p2align	6, 0x0
	.amdhsa_kernel fft_rtc_back_len112_factors_16_7_wgs_256_tpt_16_dp_ip_CI_unitstride_sbrr_R2C_dirReg
		.amdhsa_group_segment_fixed_size 0
		.amdhsa_private_segment_fixed_size 0
		.amdhsa_kernarg_size 88
		.amdhsa_user_sgpr_count 2
		.amdhsa_user_sgpr_dispatch_ptr 0
		.amdhsa_user_sgpr_queue_ptr 0
		.amdhsa_user_sgpr_kernarg_segment_ptr 1
		.amdhsa_user_sgpr_dispatch_id 0
		.amdhsa_user_sgpr_kernarg_preload_length 0
		.amdhsa_user_sgpr_kernarg_preload_offset 0
		.amdhsa_user_sgpr_private_segment_size 0
		.amdhsa_uses_dynamic_stack 0
		.amdhsa_enable_private_segment 0
		.amdhsa_system_sgpr_workgroup_id_x 1
		.amdhsa_system_sgpr_workgroup_id_y 0
		.amdhsa_system_sgpr_workgroup_id_z 0
		.amdhsa_system_sgpr_workgroup_info 0
		.amdhsa_system_vgpr_workitem_id 0
		.amdhsa_next_free_vgpr 92
		.amdhsa_next_free_sgpr 22
		.amdhsa_accum_offset 92
		.amdhsa_reserve_vcc 1
		.amdhsa_float_round_mode_32 0
		.amdhsa_float_round_mode_16_64 0
		.amdhsa_float_denorm_mode_32 3
		.amdhsa_float_denorm_mode_16_64 3
		.amdhsa_dx10_clamp 1
		.amdhsa_ieee_mode 1
		.amdhsa_fp16_overflow 0
		.amdhsa_tg_split 0
		.amdhsa_exception_fp_ieee_invalid_op 0
		.amdhsa_exception_fp_denorm_src 0
		.amdhsa_exception_fp_ieee_div_zero 0
		.amdhsa_exception_fp_ieee_overflow 0
		.amdhsa_exception_fp_ieee_underflow 0
		.amdhsa_exception_fp_ieee_inexact 0
		.amdhsa_exception_int_div_zero 0
	.end_amdhsa_kernel
	.text
.Lfunc_end0:
	.size	fft_rtc_back_len112_factors_16_7_wgs_256_tpt_16_dp_ip_CI_unitstride_sbrr_R2C_dirReg, .Lfunc_end0-fft_rtc_back_len112_factors_16_7_wgs_256_tpt_16_dp_ip_CI_unitstride_sbrr_R2C_dirReg
                                        ; -- End function
	.section	.AMDGPU.csdata,"",@progbits
; Kernel info:
; codeLenInByte = 5052
; NumSgprs: 28
; NumVgprs: 92
; NumAgprs: 0
; TotalNumVgprs: 92
; ScratchSize: 0
; MemoryBound: 0
; FloatMode: 240
; IeeeMode: 1
; LDSByteSize: 0 bytes/workgroup (compile time only)
; SGPRBlocks: 3
; VGPRBlocks: 11
; NumSGPRsForWavesPerEU: 28
; NumVGPRsForWavesPerEU: 92
; AccumOffset: 92
; Occupancy: 5
; WaveLimiterHint : 1
; COMPUTE_PGM_RSRC2:SCRATCH_EN: 0
; COMPUTE_PGM_RSRC2:USER_SGPR: 2
; COMPUTE_PGM_RSRC2:TRAP_HANDLER: 0
; COMPUTE_PGM_RSRC2:TGID_X_EN: 1
; COMPUTE_PGM_RSRC2:TGID_Y_EN: 0
; COMPUTE_PGM_RSRC2:TGID_Z_EN: 0
; COMPUTE_PGM_RSRC2:TIDIG_COMP_CNT: 0
; COMPUTE_PGM_RSRC3_GFX90A:ACCUM_OFFSET: 22
; COMPUTE_PGM_RSRC3_GFX90A:TG_SPLIT: 0
	.text
	.p2alignl 6, 3212836864
	.fill 256, 4, 3212836864
	.type	__hip_cuid_76d34cc672426ece,@object ; @__hip_cuid_76d34cc672426ece
	.section	.bss,"aw",@nobits
	.globl	__hip_cuid_76d34cc672426ece
__hip_cuid_76d34cc672426ece:
	.byte	0                               ; 0x0
	.size	__hip_cuid_76d34cc672426ece, 1

	.ident	"AMD clang version 19.0.0git (https://github.com/RadeonOpenCompute/llvm-project roc-6.4.0 25133 c7fe45cf4b819c5991fe208aaa96edf142730f1d)"
	.section	".note.GNU-stack","",@progbits
	.addrsig
	.addrsig_sym __hip_cuid_76d34cc672426ece
	.amdgpu_metadata
---
amdhsa.kernels:
  - .agpr_count:     0
    .args:
      - .actual_access:  read_only
        .address_space:  global
        .offset:         0
        .size:           8
        .value_kind:     global_buffer
      - .offset:         8
        .size:           8
        .value_kind:     by_value
      - .actual_access:  read_only
        .address_space:  global
        .offset:         16
        .size:           8
        .value_kind:     global_buffer
      - .actual_access:  read_only
        .address_space:  global
        .offset:         24
        .size:           8
        .value_kind:     global_buffer
      - .offset:         32
        .size:           8
        .value_kind:     by_value
      - .actual_access:  read_only
        .address_space:  global
        .offset:         40
        .size:           8
        .value_kind:     global_buffer
      - .actual_access:  read_only
        .address_space:  global
        .offset:         48
        .size:           8
        .value_kind:     global_buffer
      - .offset:         56
        .size:           4
        .value_kind:     by_value
      - .actual_access:  read_only
        .address_space:  global
        .offset:         64
        .size:           8
        .value_kind:     global_buffer
      - .actual_access:  read_only
        .address_space:  global
        .offset:         72
        .size:           8
        .value_kind:     global_buffer
      - .address_space:  global
        .offset:         80
        .size:           8
        .value_kind:     global_buffer
    .group_segment_fixed_size: 0
    .kernarg_segment_align: 8
    .kernarg_segment_size: 88
    .language:       OpenCL C
    .language_version:
      - 2
      - 0
    .max_flat_workgroup_size: 256
    .name:           fft_rtc_back_len112_factors_16_7_wgs_256_tpt_16_dp_ip_CI_unitstride_sbrr_R2C_dirReg
    .private_segment_fixed_size: 0
    .sgpr_count:     28
    .sgpr_spill_count: 0
    .symbol:         fft_rtc_back_len112_factors_16_7_wgs_256_tpt_16_dp_ip_CI_unitstride_sbrr_R2C_dirReg.kd
    .uniform_work_group_size: 1
    .uses_dynamic_stack: false
    .vgpr_count:     92
    .vgpr_spill_count: 0
    .wavefront_size: 64
amdhsa.target:   amdgcn-amd-amdhsa--gfx950
amdhsa.version:
  - 1
  - 2
...

	.end_amdgpu_metadata
